;; amdgpu-corpus repo=ROCm/rocFFT kind=compiled arch=gfx906 opt=O3
	.text
	.amdgcn_target "amdgcn-amd-amdhsa--gfx906"
	.amdhsa_code_object_version 6
	.protected	fft_rtc_back_len243_factors_9_9_3_wgs_189_tpt_27_dim1_sp_op_CI_CI_sbrr_dirReg ; -- Begin function fft_rtc_back_len243_factors_9_9_3_wgs_189_tpt_27_dim1_sp_op_CI_CI_sbrr_dirReg
	.globl	fft_rtc_back_len243_factors_9_9_3_wgs_189_tpt_27_dim1_sp_op_CI_CI_sbrr_dirReg
	.p2align	8
	.type	fft_rtc_back_len243_factors_9_9_3_wgs_189_tpt_27_dim1_sp_op_CI_CI_sbrr_dirReg,@function
fft_rtc_back_len243_factors_9_9_3_wgs_189_tpt_27_dim1_sp_op_CI_CI_sbrr_dirReg: ; @fft_rtc_back_len243_factors_9_9_3_wgs_189_tpt_27_dim1_sp_op_CI_CI_sbrr_dirReg
; %bb.0:
	v_mul_u32_u24_e32 v1, 0x97c, v0
	s_load_dwordx2 s[0:1], s[4:5], 0x20
	v_lshrrev_b32_e32 v4, 16, v1
	v_mad_u64_u32 v[1:2], s[2:3], s6, 7, v[4:5]
	s_load_dwordx2 s[6:7], s[4:5], 0x0
	v_mov_b32_e32 v2, 0
	s_waitcnt lgkmcnt(0)
	v_cmp_gt_u64_e32 vcc, s[0:1], v[1:2]
	v_cmp_le_u64_e64 s[0:1], s[0:1], v[1:2]
	s_movk_i32 s2, 0x97c
                                        ; implicit-def: $sgpr8_sgpr9
                                        ; implicit-def: $vgpr20
                                        ; implicit-def: $vgpr21
                                        ; implicit-def: $vgpr22
                                        ; implicit-def: $vgpr23
	s_and_saveexec_b64 s[10:11], s[0:1]
	s_xor_b64 s[0:1], exec, s[10:11]
; %bb.1:
	v_mul_u32_u24_sdwa v2, v0, s2 dst_sel:DWORD dst_unused:UNUSED_PAD src0_sel:WORD_0 src1_sel:DWORD
	v_mov_b32_e32 v3, 27
	v_mul_lo_u16_sdwa v2, v2, v3 dst_sel:DWORD dst_unused:UNUSED_PAD src0_sel:WORD_1 src1_sel:DWORD
	v_sub_u16_e32 v20, v0, v2
	v_sub_u16_e32 v23, v0, v2
	v_add_u32_e32 v21, 27, v20
	v_add_u32_e32 v22, 54, v20
	s_mov_b64 s[8:9], 0
                                        ; implicit-def: $vgpr4
                                        ; implicit-def: $vgpr0
; %bb.2:
	s_or_saveexec_b64 s[12:13], s[0:1]
	s_load_dwordx2 s[2:3], s[4:5], 0x18
	v_mov_b32_e32 v8, s8
	v_mov_b32_e32 v17, s9
	;; [unrolled: 1-line block ×8, first 2 shown]
                                        ; implicit-def: $vgpr3
                                        ; implicit-def: $vgpr19
                                        ; implicit-def: $vgpr13
                                        ; implicit-def: $vgpr11
                                        ; implicit-def: $vgpr5
	s_xor_b64 exec, exec, s[12:13]
	s_cbranch_execz .LBB0_4
; %bb.3:
	s_load_dwordx2 s[0:1], s[4:5], 0x10
	s_load_dwordx2 s[14:15], s[4:5], 0x50
	v_mul_lo_u16_e32 v41, 27, v4
	v_sub_u16_e32 v20, v0, v41
	v_add_u32_e32 v21, 27, v20
	s_waitcnt lgkmcnt(0)
	s_load_dwordx4 s[8:11], s[0:1], 0x0
	v_add_u32_e32 v22, 54, v20
	s_waitcnt lgkmcnt(0)
	v_mad_u64_u32 v[2:3], s[0:1], s10, v1, 0
	v_mad_u64_u32 v[4:5], s[0:1], s8, v20, 0
	v_mad_u64_u32 v[6:7], s[0:1], s11, v1, v[3:4]
	v_mad_u64_u32 v[7:8], s[0:1], s9, v20, v[5:6]
	v_mov_b32_e32 v3, v6
	v_lshlrev_b64 v[2:3], 3, v[2:3]
	v_mov_b32_e32 v5, v7
	v_mad_u64_u32 v[6:7], s[0:1], s8, v21, 0
	v_mov_b32_e32 v8, s15
	v_add_co_u32_e64 v10, s[0:1], s14, v2
	v_addc_co_u32_e64 v11, s[0:1], v8, v3, s[0:1]
	v_lshlrev_b64 v[2:3], 3, v[4:5]
	v_mov_b32_e32 v4, v7
	v_mad_u64_u32 v[4:5], s[0:1], s9, v21, v[4:5]
	v_mad_u64_u32 v[8:9], s[0:1], s8, v22, 0
	v_add_co_u32_e64 v23, s[0:1], v10, v2
	v_mov_b32_e32 v7, v4
	v_mov_b32_e32 v4, v9
	v_addc_co_u32_e64 v24, s[0:1], v11, v3, s[0:1]
	v_lshlrev_b64 v[2:3], 3, v[6:7]
	v_mad_u64_u32 v[4:5], s[0:1], s9, v22, v[4:5]
	v_add_u32_e32 v7, 0x51, v20
	v_mad_u64_u32 v[5:6], s[0:1], s8, v7, 0
	v_add_co_u32_e64 v25, s[0:1], v10, v2
	v_mov_b32_e32 v9, v4
	v_mov_b32_e32 v4, v6
	v_addc_co_u32_e64 v26, s[0:1], v11, v3, s[0:1]
	v_lshlrev_b64 v[2:3], 3, v[8:9]
	v_mad_u64_u32 v[6:7], s[0:1], s9, v7, v[4:5]
	v_add_u32_e32 v9, 0x6c, v20
	v_mad_u64_u32 v[7:8], s[0:1], s8, v9, 0
	v_add_co_u32_e64 v27, s[0:1], v10, v2
	v_mov_b32_e32 v4, v8
	v_addc_co_u32_e64 v28, s[0:1], v11, v3, s[0:1]
	v_lshlrev_b64 v[2:3], 3, v[5:6]
	v_mad_u64_u32 v[4:5], s[0:1], s9, v9, v[4:5]
	v_add_u32_e32 v9, 0x87, v20
	v_mad_u64_u32 v[5:6], s[0:1], s8, v9, 0
	v_add_co_u32_e64 v29, s[0:1], v10, v2
	v_mov_b32_e32 v8, v4
	v_mov_b32_e32 v4, v6
	v_addc_co_u32_e64 v30, s[0:1], v11, v3, s[0:1]
	v_lshlrev_b64 v[2:3], 3, v[7:8]
	v_mad_u64_u32 v[6:7], s[0:1], s9, v9, v[4:5]
	v_add_u32_e32 v9, 0xa2, v20
	v_mad_u64_u32 v[7:8], s[0:1], s8, v9, 0
	v_add_co_u32_e64 v31, s[0:1], v10, v2
	v_mov_b32_e32 v4, v8
	v_addc_co_u32_e64 v32, s[0:1], v11, v3, s[0:1]
	v_lshlrev_b64 v[2:3], 3, v[5:6]
	v_mad_u64_u32 v[4:5], s[0:1], s9, v9, v[4:5]
	v_add_u32_e32 v9, 0xbd, v20
	v_mad_u64_u32 v[5:6], s[0:1], s8, v9, 0
	v_add_co_u32_e64 v33, s[0:1], v10, v2
	v_mov_b32_e32 v8, v4
	v_mov_b32_e32 v4, v6
	v_addc_co_u32_e64 v34, s[0:1], v11, v3, s[0:1]
	v_lshlrev_b64 v[2:3], 3, v[7:8]
	v_mad_u64_u32 v[6:7], s[0:1], s9, v9, v[4:5]
	v_add_u32_e32 v9, 0xd8, v20
	v_mad_u64_u32 v[7:8], s[0:1], s8, v9, 0
	v_add_co_u32_e64 v35, s[0:1], v10, v2
	v_mov_b32_e32 v4, v8
	v_addc_co_u32_e64 v36, s[0:1], v11, v3, s[0:1]
	v_lshlrev_b64 v[2:3], 3, v[5:6]
	v_mad_u64_u32 v[4:5], s[0:1], s9, v9, v[4:5]
	v_add_co_u32_e64 v37, s[0:1], v10, v2
	v_mov_b32_e32 v8, v4
	v_addc_co_u32_e64 v38, s[0:1], v11, v3, s[0:1]
	v_lshlrev_b64 v[2:3], 3, v[7:8]
	v_add_co_u32_e64 v39, s[0:1], v10, v2
	v_addc_co_u32_e64 v40, s[0:1], v11, v3, s[0:1]
	global_load_dwordx2 v[2:3], v[23:24], off
	global_load_dwordx2 v[8:9], v[25:26], off
	global_load_dwordx2 v[16:17], v[27:28], off
	global_load_dwordx2 v[14:15], v[29:30], off
	global_load_dwordx2 v[6:7], v[31:32], off
	global_load_dwordx2 v[4:5], v[33:34], off
	global_load_dwordx2 v[10:11], v[35:36], off
	global_load_dwordx2 v[12:13], v[37:38], off
	global_load_dwordx2 v[18:19], v[39:40], off
	v_sub_u16_e32 v23, v0, v41
.LBB0_4:
	s_or_b64 exec, exec, s[12:13]
	s_waitcnt vmcnt(0)
	v_add_f32_e32 v0, v18, v8
	v_add_f32_e32 v25, v12, v16
	;; [unrolled: 1-line block ×5, first 2 shown]
	v_sub_f32_e32 v16, v16, v12
	v_add_f32_e32 v12, v0, v25
	v_sub_f32_e32 v18, v8, v18
	v_add_f32_e32 v28, v11, v15
	v_sub_f32_e32 v29, v14, v10
	v_add_f32_e32 v14, v24, v26
	v_add_f32_e32 v8, v12, v27
	s_mov_b32 s0, 0x24924925
	v_sub_f32_e32 v19, v9, v19
	v_add_f32_e32 v9, v14, v28
	v_add_f32_e32 v8, v8, v6
	v_sub_f32_e32 v31, v6, v4
	v_add_f32_e32 v33, v4, v6
	v_mul_hi_u32 v6, v1, s0
	v_add_f32_e32 v9, v9, v7
	v_sub_f32_e32 v32, v7, v5
	v_add_f32_e32 v34, v5, v7
	v_mul_f32_e32 v7, 0x3f7c1c5c, v16
	v_sub_f32_e32 v17, v17, v13
	v_fmac_f32_e32 v7, 0x3f248dbb, v18
	v_add_f32_e32 v13, v12, v33
	v_add_f32_e32 v12, v2, v27
	v_fmac_f32_e32 v7, 0x3f5db3d7, v29
	v_fmac_f32_e32 v12, -0.5, v13
	v_add_f32_e32 v13, v3, v28
	v_add_f32_e32 v14, v14, v34
	v_sub_f32_e32 v30, v15, v11
	v_add_f32_e32 v35, v4, v8
	v_sub_u32_e32 v4, v1, v6
	v_fmac_f32_e32 v7, 0x3eaf1d44, v31
	v_mul_f32_e32 v11, 0xbf248dbb, v31
	v_fmac_f32_e32 v13, -0.5, v14
	v_add_f32_e32 v14, v18, v31
	s_mov_b32 s8, 0xbf248dbb
	v_mul_f32_e32 v31, 0x3f7c1c5c, v31
	v_lshrrev_b32_e32 v4, 1, v4
	v_fma_f32 v31, v16, s8, -v31
	v_add_u32_e32 v37, v4, v6
	v_mul_f32_e32 v6, 0x3f7c1c5c, v17
	v_fmac_f32_e32 v11, 0x3f7c1c5c, v18
	v_mul_f32_e32 v10, 0xbf248dbb, v32
	v_fmac_f32_e32 v31, 0x3f5db3d7, v29
	v_fmac_f32_e32 v6, 0x3f248dbb, v19
	;; [unrolled: 1-line block ×5, first 2 shown]
	v_lshrrev_b32_e32 v18, 2, v37
	v_add_f32_e32 v36, v5, v9
	v_fmac_f32_e32 v6, 0x3f5db3d7, v30
	v_fmac_f32_e32 v10, 0xbf5db3d7, v30
	;; [unrolled: 1-line block ×3, first 2 shown]
	v_sub_f32_e32 v14, v14, v16
	v_add_f32_e32 v15, v19, v32
	v_mul_f32_e32 v16, 0x3f7c1c5c, v32
	v_mul_lo_u32 v18, v18, 7
	v_fmac_f32_e32 v6, 0x3eaf1d44, v32
	v_mov_b32_e32 v5, v3
	v_fmac_f32_e32 v10, 0x3eaf1d44, v17
	v_mov_b32_e32 v8, v2
	v_mov_b32_e32 v9, v3
	v_sub_f32_e32 v15, v15, v17
	v_fma_f32 v32, v17, s8, -v16
	v_add_f32_e32 v17, v3, v36
	v_fmac_f32_e32 v3, 0x3f441b7d, v26
	v_mov_b32_e32 v4, v2
	v_fmac_f32_e32 v8, 0x3f441b7d, v33
	v_add_f32_e32 v16, v2, v35
	v_fmac_f32_e32 v2, 0x3f441b7d, v25
	v_fmac_f32_e32 v3, 0x3e31d0d4, v34
	;; [unrolled: 1-line block ×4, first 2 shown]
	v_fmac_f32_e32 v3, -0.5, v28
	v_fmac_f32_e32 v4, 0x3f441b7d, v0
	v_fmac_f32_e32 v5, 0x3f441b7d, v24
	;; [unrolled: 1-line block ×3, first 2 shown]
	v_fmac_f32_e32 v8, -0.5, v27
	v_fmac_f32_e32 v32, 0x3f5db3d7, v30
	v_fmac_f32_e32 v2, -0.5, v27
	v_sub_u32_e32 v18, v1, v18
	v_fmac_f32_e32 v3, 0xbf708fb2, v24
	v_fmac_f32_e32 v4, 0x3e31d0d4, v25
	;; [unrolled: 1-line block ×6, first 2 shown]
	v_mul_u32_u24_e32 v25, 0xf3, v18
	v_fmac_f32_e32 v2, 0xbf708fb2, v0
	v_add_f32_e32 v3, v31, v3
	v_fmac_f32_e32 v4, -0.5, v27
	v_fmac_f32_e32 v5, -0.5, v28
	v_fmac_f32_e32 v9, -0.5, v28
	v_sub_f32_e32 v2, v2, v32
	v_fma_f32 v19, -2.0, v31, v3
	v_lshlrev_b32_e32 v31, 3, v25
	v_fmac_f32_e32 v4, 0xbf708fb2, v33
	v_fmac_f32_e32 v5, 0xbf708fb2, v34
	;; [unrolled: 1-line block ×3, first 2 shown]
	v_fma_f32 v18, 2.0, v32, v2
	v_add_u32_e32 v32, 0, v31
	s_movk_i32 s9, 0x48
	v_sub_f32_e32 v4, v4, v6
	v_add_f32_e32 v5, v7, v5
	v_sub_f32_e32 v8, v8, v10
	v_add_f32_e32 v9, v11, v9
	v_fmac_f32_e32 v13, 0x3f5db3d7, v14
	v_mul_f32_e32 v38, 0x3f5db3d7, v14
	v_fmac_f32_e32 v12, 0xbf5db3d7, v15
	v_mul_f32_e32 v14, 0x3f5db3d7, v15
	v_mad_u32_u24 v0, v20, s9, v32
	v_fma_f32 v6, 2.0, v6, v4
	v_fma_f32 v7, -2.0, v7, v5
	v_fma_f32 v10, 2.0, v10, v8
	v_fma_f32 v11, -2.0, v11, v9
	;; [unrolled: 2-line block ×3, first 2 shown]
	s_waitcnt lgkmcnt(0)
	s_load_dwordx4 s[0:3], s[2:3], 0x0
	ds_write2_b64 v0, v[16:17], v[4:5] offset1:1
	ds_write2_b64 v0, v[8:9], v[12:13] offset0:2 offset1:3
	ds_write2_b64 v0, v[2:3], v[18:19] offset0:4 offset1:5
	;; [unrolled: 1-line block ×3, first 2 shown]
	ds_write_b64 v0, v[6:7] offset:64
	v_mov_b32_e32 v2, 57
	v_mul_lo_u16_sdwa v2, v23, v2 dst_sel:DWORD dst_unused:UNUSED_PAD src0_sel:BYTE_0 src1_sel:DWORD
	v_lshrrev_b16_e32 v18, 9, v2
	v_mul_lo_u16_e32 v2, 9, v18
	v_sub_u16_e32 v19, v23, v2
	v_mov_b32_e32 v2, 6
	v_lshlrev_b32_sdwa v23, v2, v19 dst_sel:DWORD dst_unused:UNUSED_PAD src0_sel:DWORD src1_sel:BYTE_0
	s_waitcnt lgkmcnt(0)
	s_barrier
	global_load_dwordx4 v[2:5], v23, s[6:7] offset:16
	global_load_dwordx4 v[6:9], v23, s[6:7] offset:32
	;; [unrolled: 1-line block ×3, first 2 shown]
	global_load_dwordx4 v[14:17], v23, s[6:7]
	v_lshlrev_b32_e32 v23, 6, v20
	v_sub_u32_e32 v0, v0, v23
	ds_read2_b64 v[23:26], v0 offset0:81 offset1:108
	ds_read2_b64 v[27:30], v0 offset0:135 offset1:162
	s_waitcnt vmcnt(3) lgkmcnt(1)
	v_mul_f32_e32 v33, v3, v24
	v_mul_f32_e32 v3, v3, v23
	v_fmac_f32_e32 v33, v2, v23
	v_fma_f32 v23, v2, v24, -v3
	v_mul_f32_e32 v24, v5, v26
	v_mul_f32_e32 v2, v5, v25
	v_fmac_f32_e32 v24, v4, v25
	v_fma_f32 v25, v4, v26, -v2
	s_waitcnt vmcnt(2) lgkmcnt(0)
	v_mul_f32_e32 v26, v7, v28
	v_mul_f32_e32 v2, v7, v27
	v_fmac_f32_e32 v26, v6, v27
	v_fma_f32 v27, v6, v28, -v2
	ds_read2_b64 v[2:5], v0 offset0:189 offset1:216
	v_mul_f32_e32 v28, v30, v9
	v_mul_f32_e32 v6, v29, v9
	v_fmac_f32_e32 v28, v29, v8
	v_fma_f32 v29, v30, v8, -v6
	s_waitcnt vmcnt(1) lgkmcnt(0)
	v_mul_f32_e32 v30, v3, v11
	v_fmac_f32_e32 v30, v2, v10
	v_mul_f32_e32 v2, v2, v11
	v_fma_f32 v11, v3, v10, -v2
	v_mul_f32_e32 v34, v5, v13
	v_mul_f32_e32 v2, v4, v13
	v_fmac_f32_e32 v34, v4, v12
	v_fma_f32 v12, v5, v12, -v2
	v_lshl_add_u32 v2, v21, 3, v32
	ds_read_b64 v[5:6], v2
	v_lshl_add_u32 v3, v22, 3, v32
	ds_read_b64 v[7:8], v3
	;; [unrolled: 2-line block ×3, first 2 shown]
	s_waitcnt vmcnt(0) lgkmcnt(2)
	v_mul_f32_e32 v13, v15, v6
	v_fmac_f32_e32 v13, v14, v5
	v_mul_f32_e32 v5, v15, v5
	v_fma_f32 v5, v14, v6, -v5
	s_waitcnt lgkmcnt(1)
	v_mul_f32_e32 v6, v17, v8
	v_fmac_f32_e32 v6, v16, v7
	v_mul_f32_e32 v7, v17, v7
	v_add_f32_e32 v15, v13, v34
	v_add_f32_e32 v17, v6, v30
	;; [unrolled: 1-line block ×3, first 2 shown]
	v_sub_f32_e32 v28, v33, v28
	v_add_f32_e32 v33, v23, v29
	v_sub_f32_e32 v23, v23, v29
	v_add_f32_e32 v29, v17, v15
	v_fma_f32 v7, v16, v8, -v7
	v_sub_f32_e32 v32, v13, v34
	v_add_f32_e32 v16, v5, v12
	v_sub_f32_e32 v34, v5, v12
	v_add_f32_e32 v5, v37, v29
	v_add_f32_e32 v35, v7, v11
	;; [unrolled: 1-line block ×3, first 2 shown]
	v_sub_f32_e32 v38, v24, v26
	v_add_f32_e32 v24, v24, v26
	v_add_f32_e32 v5, v26, v5
	;; [unrolled: 1-line block ×3, first 2 shown]
	v_sub_f32_e32 v30, v6, v30
	v_add_f32_e32 v6, v33, v26
	v_sub_f32_e32 v36, v7, v11
	v_add_f32_e32 v6, v25, v6
	v_sub_f32_e32 v39, v25, v27
	v_mul_f32_e32 v11, 0x3f7c1c5c, v38
	v_add_f32_e32 v25, v25, v27
	v_add_f32_e32 v6, v27, v6
	v_fma_f32 v27, v30, s8, -v11
	v_mul_f32_e32 v11, 0x3f7c1c5c, v39
	v_fma_f32 v40, v36, s8, -v11
	v_mov_b32_e32 v13, 3
	s_movk_i32 s8, 0x288
	v_lshlrev_b32_sdwa v13, v13, v19 dst_sel:DWORD dst_unused:UNUSED_PAD src0_sel:DWORD src1_sel:BYTE_0
	v_mad_u32_u24 v14, v18, s8, 0
	v_add3_u32 v19, v14, v13, v31
	v_mul_f32_e32 v14, 0x3f248dbb, v32
	v_mul_f32_e32 v18, 0xbf248dbb, v38
	s_waitcnt lgkmcnt(0)
	v_mov_b32_e32 v41, v9
	v_fmac_f32_e32 v14, 0x3f7c1c5c, v30
	v_fmac_f32_e32 v18, 0x3f7c1c5c, v32
	;; [unrolled: 1-line block ×5, first 2 shown]
	v_mul_f32_e32 v28, 0xbf248dbb, v39
	v_fmac_f32_e32 v41, 0x3f441b7d, v24
	v_add_f32_e32 v5, v9, v5
	v_add_f32_e32 v7, v37, v9
	v_mov_b32_e32 v11, v9
	v_fmac_f32_e32 v9, 0x3f441b7d, v17
	v_mov_b32_e32 v12, v10
	v_fmac_f32_e32 v28, 0x3f7c1c5c, v34
	v_fmac_f32_e32 v41, 0x3e31d0d4, v15
	v_mov_b32_e32 v42, v10
	v_fmac_f32_e32 v9, 0x3e31d0d4, v24
	v_fmac_f32_e32 v11, 0x3f441b7d, v15
	;; [unrolled: 1-line block ×4, first 2 shown]
	v_fmac_f32_e32 v41, -0.5, v37
	v_add_f32_e32 v6, v10, v6
	v_add_f32_e32 v8, v33, v10
	v_fmac_f32_e32 v10, 0x3f441b7d, v35
	v_fmac_f32_e32 v9, -0.5, v37
	v_mul_f32_e32 v13, 0x3f248dbb, v34
	v_fmac_f32_e32 v11, 0x3e31d0d4, v17
	v_fmac_f32_e32 v12, 0x3e31d0d4, v35
	;; [unrolled: 1-line block ×8, first 2 shown]
	v_fmac_f32_e32 v11, -0.5, v37
	v_fmac_f32_e32 v12, -0.5, v33
	v_fmac_f32_e32 v42, 0x3e31d0d4, v16
	v_sub_f32_e32 v15, v41, v28
	v_fmac_f32_e32 v40, 0x3f5db3d7, v23
	v_fmac_f32_e32 v10, -0.5, v33
	v_fmac_f32_e32 v13, 0x3f5db3d7, v23
	v_fmac_f32_e32 v11, 0xbf708fb2, v24
	;; [unrolled: 1-line block ×3, first 2 shown]
	v_fmac_f32_e32 v42, -0.5, v33
	v_fma_f32 v17, 2.0, v28, v15
	v_add_f32_e32 v23, v38, v32
	v_add_f32_e32 v28, v39, v34
	;; [unrolled: 1-line block ×4, first 2 shown]
	v_fmac_f32_e32 v27, 0x3eaf1d44, v32
	v_fmac_f32_e32 v40, 0x3eaf1d44, v34
	;; [unrolled: 1-line block ×7, first 2 shown]
	v_sub_f32_e32 v23, v23, v30
	v_sub_f32_e32 v28, v28, v36
	v_fmac_f32_e32 v7, -0.5, v24
	v_fmac_f32_e32 v8, -0.5, v25
	v_sub_f32_e32 v9, v9, v40
	v_add_f32_e32 v10, v27, v10
	v_sub_f32_e32 v11, v11, v13
	v_add_f32_e32 v12, v14, v12
	v_add_f32_e32 v16, v18, v42
	v_fmac_f32_e32 v8, 0x3f5db3d7, v23
	v_mul_f32_e32 v24, 0x3f5db3d7, v23
	v_fmac_f32_e32 v7, 0xbf5db3d7, v28
	v_mul_f32_e32 v23, 0x3f5db3d7, v28
	s_movk_i32 s8, 0xf3
	v_fma_f32 v13, 2.0, v13, v11
	v_fma_f32 v14, -2.0, v14, v12
	v_fma_f32 v18, -2.0, v18, v16
	v_fma_f32 v23, 2.0, v23, v7
	v_fma_f32 v24, -2.0, v24, v8
	v_fma_f32 v25, 2.0, v40, v9
	v_fma_f32 v26, -2.0, v27, v10
	s_barrier
	ds_write2_b64 v19, v[5:6], v[11:12] offset1:9
	ds_write2_b64 v19, v[15:16], v[7:8] offset0:18 offset1:27
	ds_write2_b64 v19, v[9:10], v[25:26] offset0:36 offset1:45
	;; [unrolled: 1-line block ×3, first 2 shown]
	ds_write_b64 v19, v[13:14] offset:576
	s_waitcnt lgkmcnt(0)
	s_barrier
	s_and_saveexec_b64 s[10:11], vcc
	s_cbranch_execz .LBB0_6
; %bb.5:
	v_lshlrev_b32_e32 v13, 1, v22
	v_mov_b32_e32 v14, 0
	v_lshlrev_b64 v[5:6], 3, v[13:14]
	v_lshlrev_b32_e32 v13, 1, v21
	v_mov_b32_e32 v15, s7
	v_add_co_u32_e32 v5, vcc, s6, v5
	v_lshlrev_b64 v[9:10], 3, v[13:14]
	v_addc_co_u32_e32 v6, vcc, v15, v6, vcc
	v_lshlrev_b32_e32 v13, 1, v20
	v_add_co_u32_e32 v9, vcc, s6, v9
	v_lshlrev_b64 v[13:14], 3, v[13:14]
	global_load_dwordx4 v[5:8], v[5:6], off offset:576
	v_addc_co_u32_e32 v10, vcc, v15, v10, vcc
	global_load_dwordx4 v[9:12], v[9:10], off offset:576
	v_add_co_u32_e32 v13, vcc, s6, v13
	v_addc_co_u32_e32 v14, vcc, v15, v14, vcc
	global_load_dwordx4 v[13:16], v[13:14], off offset:576
	v_mad_u64_u32 v[17:18], s[6:7], s2, v1, 0
	ds_read2_b64 v[21:24], v0 offset0:135 offset1:162
	ds_read2_b64 v[25:28], v0 offset0:189 offset1:216
	;; [unrolled: 1-line block ×3, first 2 shown]
	s_mov_b32 s6, 0xca4587e7
	v_mov_b32_e32 v0, v18
	v_mad_u64_u32 v[0:1], s[2:3], s3, v1, v[0:1]
	ds_read_b64 v[33:34], v3
	ds_read_b64 v[1:2], v2
	;; [unrolled: 1-line block ×3, first 2 shown]
	s_movk_i32 s7, 0x51
	v_mov_b32_e32 v18, v0
	s_load_dwordx2 s[4:5], s[4:5], 0x58
	v_lshlrev_b64 v[17:18], 3, v[17:18]
	s_waitcnt vmcnt(2) lgkmcnt(0)
	v_mul_f32_e32 v0, v6, v21
	v_mul_f32_e32 v19, v8, v27
	;; [unrolled: 1-line block ×4, first 2 shown]
	v_fma_f32 v0, v5, v22, -v0
	v_fma_f32 v7, v7, v28, -v19
	v_fmac_f32_e32 v6, v5, v21
	v_fmac_f32_e32 v27, v28, v8
	s_waitcnt vmcnt(1)
	v_mul_f32_e32 v19, v10, v32
	v_mul_f32_e32 v21, v12, v26
	;; [unrolled: 1-line block ×4, first 2 shown]
	v_add_f32_e32 v12, v34, v0
	v_add_f32_e32 v35, v6, v33
	v_fmac_f32_e32 v19, v9, v31
	v_fmac_f32_e32 v21, v11, v25
	v_fma_f32 v9, v9, v32, -v5
	v_fma_f32 v11, v11, v26, -v8
	v_add_f32_e32 v10, v0, v7
	v_sub_f32_e32 v22, v6, v27
	v_add_f32_e32 v28, v6, v27
	v_sub_f32_e32 v0, v0, v7
	s_waitcnt vmcnt(0)
	v_mul_f32_e32 v25, v14, v29
	v_mul_f32_e32 v31, v14, v30
	v_add_f32_e32 v8, v12, v7
	v_add_f32_e32 v7, v35, v27
	v_sub_f32_e32 v27, v19, v21
	v_add_f32_e32 v12, v9, v11
	v_add_f32_e32 v14, v19, v21
	v_add_f32_e32 v32, v9, v2
	v_add_f32_e32 v19, v19, v1
	v_mul_f32_e32 v26, v16, v23
	v_fma_f32 v5, -0.5, v28, v33
	v_sub_f32_e32 v28, v9, v11
	v_fma_f32 v2, -0.5, v12, v2
	v_add_f32_e32 v12, v32, v11
	v_add_f32_e32 v11, v19, v21
	v_mul_f32_e32 v19, v16, v24
	v_fma_f32 v26, v15, v24, -v26
	v_fmac_f32_e32 v19, v15, v23
	v_mul_hi_u32 v15, v20, s6
	v_fma_f32 v1, -0.5, v14, v1
	v_mov_b32_e32 v21, v1
	v_fmac_f32_e32 v1, 0x3f5db3d7, v28
	v_lshrrev_b32_e32 v15, 6, v15
	v_mul_lo_u32 v23, v15, s7
	v_fmac_f32_e32 v21, 0xbf5db3d7, v28
	v_fma_f32 v25, v13, v30, -v25
	v_add_f32_e32 v14, v25, v26
	v_sub_u32_e32 v28, v20, v23
	v_mad_u64_u32 v[23:24], s[2:3], s0, v28, 0
	v_fma_f32 v6, -0.5, v10, v34
	v_mov_b32_e32 v9, v5
	v_fma_f32 v14, -0.5, v14, v4
	v_fmac_f32_e32 v31, v13, v29
	v_mov_b32_e32 v10, v6
	v_fmac_f32_e32 v5, 0xbf5db3d7, v0
	v_fmac_f32_e32 v9, 0x3f5db3d7, v0
	v_sub_f32_e32 v0, v31, v19
	v_mov_b32_e32 v16, v14
	v_fmac_f32_e32 v6, 0x3f5db3d7, v22
	v_fmac_f32_e32 v10, 0xbf5db3d7, v22
	v_mov_b32_e32 v22, v2
	v_fmac_f32_e32 v16, 0xbf5db3d7, v0
	v_fmac_f32_e32 v14, 0x3f5db3d7, v0
	;; [unrolled: 3-line block ×3, first 2 shown]
	v_add_f32_e32 v13, v31, v19
	v_sub_f32_e32 v27, v25, v26
	v_add_f32_e32 v4, v4, v25
	v_mad_u64_u32 v[24:25], s[2:3], s1, v28, v[0:1]
	v_add_f32_e32 v0, v3, v31
	v_fma_f32 v13, -0.5, v13, v3
	v_add_f32_e32 v3, v0, v19
	v_add_u32_e32 v19, 0x51, v28
	v_add_f32_e32 v4, v4, v26
	v_mad_u64_u32 v[25:26], s[2:3], s0, v19, 0
	v_mov_b32_e32 v15, v13
	v_fmac_f32_e32 v15, 0x3f5db3d7, v27
	v_fmac_f32_e32 v13, 0xbf5db3d7, v27
	v_mov_b32_e32 v0, s5
	v_add_co_u32_e32 v27, vcc, s4, v17
	v_addc_co_u32_e32 v29, vcc, v0, v18, vcc
	v_mov_b32_e32 v0, v26
	v_lshlrev_b64 v[17:18], 3, v[23:24]
	v_mad_u64_u32 v[23:24], s[2:3], s1, v19, v[0:1]
	v_add_co_u32_e32 v17, vcc, v27, v17
	v_addc_co_u32_e32 v18, vcc, v29, v18, vcc
	v_mov_b32_e32 v26, v23
	v_add_u32_e32 v23, 27, v20
	global_store_dwordx2 v[17:18], v[3:4], off
	v_lshlrev_b64 v[3:4], 3, v[25:26]
	v_mul_hi_u32 v0, v23, s6
	v_add_co_u32_e32 v3, vcc, v27, v3
	v_addc_co_u32_e32 v4, vcc, v29, v4, vcc
	v_add_u32_e32 v19, 0xa2, v28
	v_mad_u64_u32 v[17:18], s[2:3], s0, v19, 0
	global_store_dwordx2 v[3:4], v[13:14], off
	v_lshrrev_b32_e32 v13, 6, v0
	v_mul_lo_u32 v14, v13, s7
	v_mov_b32_e32 v0, v18
	v_mad_u64_u32 v[3:4], s[2:3], s1, v19, v[0:1]
	v_sub_u32_e32 v0, v23, v14
	v_mad_u64_u32 v[13:14], s[2:3], v13, s8, v[0:1]
	v_mov_b32_e32 v18, v3
	v_lshlrev_b64 v[3:4], 3, v[17:18]
	v_mad_u64_u32 v[17:18], s[2:3], s0, v13, 0
	v_add_u32_e32 v14, 0x51, v13
	v_mad_u64_u32 v[23:24], s[2:3], s0, v14, 0
	v_add_co_u32_e32 v3, vcc, v27, v3
	v_mov_b32_e32 v0, v18
	v_addc_co_u32_e32 v4, vcc, v29, v4, vcc
	v_mad_u64_u32 v[18:19], s[2:3], s1, v13, v[0:1]
	v_mov_b32_e32 v0, v24
	global_store_dwordx2 v[3:4], v[15:16], off
	v_mad_u64_u32 v[14:15], s[2:3], s1, v14, v[0:1]
	v_lshlrev_b64 v[3:4], 3, v[17:18]
	v_add_u32_e32 v15, 0xa2, v13
	v_mov_b32_e32 v24, v14
	v_add_u32_e32 v14, 54, v20
	v_mul_hi_u32 v0, v14, s6
	v_add_co_u32_e32 v3, vcc, v27, v3
	v_addc_co_u32_e32 v4, vcc, v29, v4, vcc
	v_lshrrev_b32_e32 v13, 6, v0
	global_store_dwordx2 v[3:4], v[11:12], off
	v_mad_u64_u32 v[11:12], s[2:3], s0, v15, 0
	v_mul_lo_u32 v16, v13, s7
	v_lshlrev_b64 v[3:4], 3, v[23:24]
	v_mov_b32_e32 v0, v12
	v_add_co_u32_e32 v3, vcc, v27, v3
	v_sub_u32_e32 v12, v14, v16
	v_mad_u64_u32 v[13:14], s[2:3], v13, s8, v[12:13]
	v_mad_u64_u32 v[14:15], s[2:3], s1, v15, v[0:1]
	v_addc_co_u32_e32 v4, vcc, v29, v4, vcc
	v_mov_b32_e32 v12, v14
	global_store_dwordx2 v[3:4], v[21:22], off
	v_lshlrev_b64 v[3:4], 3, v[11:12]
	v_mad_u64_u32 v[15:16], s[2:3], s0, v13, 0
	v_add_co_u32_e32 v3, vcc, v27, v3
	v_addc_co_u32_e32 v4, vcc, v29, v4, vcc
	global_store_dwordx2 v[3:4], v[1:2], off
	v_add_u32_e32 v4, 0x51, v13
	v_mov_b32_e32 v0, v16
	v_mad_u64_u32 v[2:3], s[2:3], s0, v4, 0
	v_mad_u64_u32 v[11:12], s[2:3], s1, v13, v[0:1]
	;; [unrolled: 1-line block ×3, first 2 shown]
	v_mov_b32_e32 v16, v11
	v_add_u32_e32 v4, 0xa2, v13
	v_lshlrev_b64 v[0:1], 3, v[15:16]
	v_mad_u64_u32 v[11:12], s[2:3], s0, v4, 0
	v_add_co_u32_e32 v0, vcc, v27, v0
	v_addc_co_u32_e32 v1, vcc, v29, v1, vcc
	global_store_dwordx2 v[0:1], v[7:8], off
	v_lshlrev_b64 v[0:1], 3, v[2:3]
	v_mov_b32_e32 v2, v12
	v_mad_u64_u32 v[2:3], s[0:1], s1, v4, v[2:3]
	v_add_co_u32_e32 v0, vcc, v27, v0
	v_addc_co_u32_e32 v1, vcc, v29, v1, vcc
	v_mov_b32_e32 v12, v2
	global_store_dwordx2 v[0:1], v[5:6], off
	v_lshlrev_b64 v[0:1], 3, v[11:12]
	v_add_co_u32_e32 v0, vcc, v27, v0
	v_addc_co_u32_e32 v1, vcc, v29, v1, vcc
	global_store_dwordx2 v[0:1], v[9:10], off
.LBB0_6:
	s_endpgm
	.section	.rodata,"a",@progbits
	.p2align	6, 0x0
	.amdhsa_kernel fft_rtc_back_len243_factors_9_9_3_wgs_189_tpt_27_dim1_sp_op_CI_CI_sbrr_dirReg
		.amdhsa_group_segment_fixed_size 0
		.amdhsa_private_segment_fixed_size 0
		.amdhsa_kernarg_size 96
		.amdhsa_user_sgpr_count 6
		.amdhsa_user_sgpr_private_segment_buffer 1
		.amdhsa_user_sgpr_dispatch_ptr 0
		.amdhsa_user_sgpr_queue_ptr 0
		.amdhsa_user_sgpr_kernarg_segment_ptr 1
		.amdhsa_user_sgpr_dispatch_id 0
		.amdhsa_user_sgpr_flat_scratch_init 0
		.amdhsa_user_sgpr_private_segment_size 0
		.amdhsa_uses_dynamic_stack 0
		.amdhsa_system_sgpr_private_segment_wavefront_offset 0
		.amdhsa_system_sgpr_workgroup_id_x 1
		.amdhsa_system_sgpr_workgroup_id_y 0
		.amdhsa_system_sgpr_workgroup_id_z 0
		.amdhsa_system_sgpr_workgroup_info 0
		.amdhsa_system_vgpr_workitem_id 0
		.amdhsa_next_free_vgpr 43
		.amdhsa_next_free_sgpr 16
		.amdhsa_reserve_vcc 1
		.amdhsa_reserve_flat_scratch 0
		.amdhsa_float_round_mode_32 0
		.amdhsa_float_round_mode_16_64 0
		.amdhsa_float_denorm_mode_32 3
		.amdhsa_float_denorm_mode_16_64 3
		.amdhsa_dx10_clamp 1
		.amdhsa_ieee_mode 1
		.amdhsa_fp16_overflow 0
		.amdhsa_exception_fp_ieee_invalid_op 0
		.amdhsa_exception_fp_denorm_src 0
		.amdhsa_exception_fp_ieee_div_zero 0
		.amdhsa_exception_fp_ieee_overflow 0
		.amdhsa_exception_fp_ieee_underflow 0
		.amdhsa_exception_fp_ieee_inexact 0
		.amdhsa_exception_int_div_zero 0
	.end_amdhsa_kernel
	.text
.Lfunc_end0:
	.size	fft_rtc_back_len243_factors_9_9_3_wgs_189_tpt_27_dim1_sp_op_CI_CI_sbrr_dirReg, .Lfunc_end0-fft_rtc_back_len243_factors_9_9_3_wgs_189_tpt_27_dim1_sp_op_CI_CI_sbrr_dirReg
                                        ; -- End function
	.section	.AMDGPU.csdata,"",@progbits
; Kernel info:
; codeLenInByte = 3816
; NumSgprs: 20
; NumVgprs: 43
; ScratchSize: 0
; MemoryBound: 0
; FloatMode: 240
; IeeeMode: 1
; LDSByteSize: 0 bytes/workgroup (compile time only)
; SGPRBlocks: 2
; VGPRBlocks: 10
; NumSGPRsForWavesPerEU: 20
; NumVGPRsForWavesPerEU: 43
; Occupancy: 5
; WaveLimiterHint : 1
; COMPUTE_PGM_RSRC2:SCRATCH_EN: 0
; COMPUTE_PGM_RSRC2:USER_SGPR: 6
; COMPUTE_PGM_RSRC2:TRAP_HANDLER: 0
; COMPUTE_PGM_RSRC2:TGID_X_EN: 1
; COMPUTE_PGM_RSRC2:TGID_Y_EN: 0
; COMPUTE_PGM_RSRC2:TGID_Z_EN: 0
; COMPUTE_PGM_RSRC2:TIDIG_COMP_CNT: 0
	.type	__hip_cuid_770289ccbbda2924,@object ; @__hip_cuid_770289ccbbda2924
	.section	.bss,"aw",@nobits
	.globl	__hip_cuid_770289ccbbda2924
__hip_cuid_770289ccbbda2924:
	.byte	0                               ; 0x0
	.size	__hip_cuid_770289ccbbda2924, 1

	.ident	"AMD clang version 19.0.0git (https://github.com/RadeonOpenCompute/llvm-project roc-6.4.0 25133 c7fe45cf4b819c5991fe208aaa96edf142730f1d)"
	.section	".note.GNU-stack","",@progbits
	.addrsig
	.addrsig_sym __hip_cuid_770289ccbbda2924
	.amdgpu_metadata
---
amdhsa.kernels:
  - .args:
      - .actual_access:  read_only
        .address_space:  global
        .offset:         0
        .size:           8
        .value_kind:     global_buffer
      - .actual_access:  read_only
        .address_space:  global
        .offset:         8
        .size:           8
        .value_kind:     global_buffer
      - .actual_access:  read_only
        .address_space:  global
        .offset:         16
        .size:           8
        .value_kind:     global_buffer
      - .actual_access:  read_only
        .address_space:  global
        .offset:         24
        .size:           8
        .value_kind:     global_buffer
      - .offset:         32
        .size:           8
        .value_kind:     by_value
      - .actual_access:  read_only
        .address_space:  global
        .offset:         40
        .size:           8
        .value_kind:     global_buffer
      - .actual_access:  read_only
        .address_space:  global
        .offset:         48
        .size:           8
        .value_kind:     global_buffer
      - .offset:         56
        .size:           4
        .value_kind:     by_value
      - .actual_access:  read_only
        .address_space:  global
        .offset:         64
        .size:           8
        .value_kind:     global_buffer
      - .actual_access:  read_only
        .address_space:  global
        .offset:         72
        .size:           8
        .value_kind:     global_buffer
      - .actual_access:  read_only
        .address_space:  global
        .offset:         80
        .size:           8
        .value_kind:     global_buffer
      - .actual_access:  write_only
        .address_space:  global
        .offset:         88
        .size:           8
        .value_kind:     global_buffer
    .group_segment_fixed_size: 0
    .kernarg_segment_align: 8
    .kernarg_segment_size: 96
    .language:       OpenCL C
    .language_version:
      - 2
      - 0
    .max_flat_workgroup_size: 189
    .name:           fft_rtc_back_len243_factors_9_9_3_wgs_189_tpt_27_dim1_sp_op_CI_CI_sbrr_dirReg
    .private_segment_fixed_size: 0
    .sgpr_count:     20
    .sgpr_spill_count: 0
    .symbol:         fft_rtc_back_len243_factors_9_9_3_wgs_189_tpt_27_dim1_sp_op_CI_CI_sbrr_dirReg.kd
    .uniform_work_group_size: 1
    .uses_dynamic_stack: false
    .vgpr_count:     43
    .vgpr_spill_count: 0
    .wavefront_size: 64
amdhsa.target:   amdgcn-amd-amdhsa--gfx906
amdhsa.version:
  - 1
  - 2
...

	.end_amdgpu_metadata
